;; amdgpu-corpus repo=ROCm/rocFFT kind=compiled arch=gfx1201 opt=O3
	.text
	.amdgcn_target "amdgcn-amd-amdhsa--gfx1201"
	.amdhsa_code_object_version 6
	.protected	bluestein_single_fwd_len420_dim1_dp_op_CI_CI ; -- Begin function bluestein_single_fwd_len420_dim1_dp_op_CI_CI
	.globl	bluestein_single_fwd_len420_dim1_dp_op_CI_CI
	.p2align	8
	.type	bluestein_single_fwd_len420_dim1_dp_op_CI_CI,@function
bluestein_single_fwd_len420_dim1_dp_op_CI_CI: ; @bluestein_single_fwd_len420_dim1_dp_op_CI_CI
; %bb.0:
	s_load_b128 s[8:11], s[0:1], 0x28
	v_mul_u32_u24_e32 v1, 0x445, v0
	s_mov_b32 s2, exec_lo
	v_mov_b32_e32 v125, 0
	s_delay_alu instid0(VALU_DEP_2) | instskip(NEXT) | instid1(VALU_DEP_1)
	v_lshrrev_b32_e32 v1, 16, v1
	v_add_nc_u32_e32 v124, ttmp9, v1
	s_wait_kmcnt 0x0
	s_delay_alu instid0(VALU_DEP_1)
	v_cmpx_gt_u64_e64 s[8:9], v[124:125]
	s_cbranch_execz .LBB0_23
; %bb.1:
	s_clause 0x1
	s_load_b64 s[12:13], s[0:1], 0x0
	s_load_b64 s[8:9], s[0:1], 0x38
	v_mul_lo_u16 v1, v1, 60
	s_delay_alu instid0(VALU_DEP_1) | instskip(NEXT) | instid1(VALU_DEP_1)
	v_sub_nc_u16 v0, v0, v1
	v_and_b32_e32 v181, 0xffff, v0
	v_cmp_gt_u16_e32 vcc_lo, 42, v0
	s_delay_alu instid0(VALU_DEP_2)
	v_lshlrev_b32_e32 v182, 4, v181
	s_and_saveexec_b32 s3, vcc_lo
	s_cbranch_execz .LBB0_3
; %bb.2:
	s_load_b64 s[4:5], s[0:1], 0x18
	s_wait_kmcnt 0x0
	s_load_b128 s[4:7], s[4:5], 0x0
	s_wait_kmcnt 0x0
	v_mad_co_u64_u32 v[0:1], null, s6, v124, 0
	v_mad_co_u64_u32 v[2:3], null, s4, v181, 0
	s_delay_alu instid0(VALU_DEP_1) | instskip(NEXT) | instid1(VALU_DEP_1)
	v_mad_co_u64_u32 v[4:5], null, s7, v124, v[1:2]
	v_mad_co_u64_u32 v[5:6], null, s5, v181, v[3:4]
	v_mov_b32_e32 v1, v4
	s_mul_u64 s[4:5], s[4:5], 0x2a0
	s_delay_alu instid0(VALU_DEP_1) | instskip(NEXT) | instid1(VALU_DEP_3)
	v_lshlrev_b64_e32 v[0:1], 4, v[0:1]
	v_mov_b32_e32 v3, v5
	s_delay_alu instid0(VALU_DEP_2) | instskip(NEXT) | instid1(VALU_DEP_2)
	v_add_co_u32 v10, s2, s10, v0
	v_lshlrev_b64_e32 v[8:9], 4, v[2:3]
	s_delay_alu instid0(VALU_DEP_4)
	v_add_co_ci_u32_e64 v11, s2, s11, v1, s2
	s_clause 0x1
	global_load_b128 v[0:3], v182, s[12:13]
	global_load_b128 v[4:7], v182, s[12:13] offset:672
	v_add_co_u32 v32, s2, v10, v8
	s_wait_alu 0xf1ff
	v_add_co_ci_u32_e64 v33, s2, v11, v9, s2
	s_clause 0x1
	global_load_b128 v[8:11], v182, s[12:13] offset:1344
	global_load_b128 v[12:15], v182, s[12:13] offset:2016
	s_wait_alu 0xfffe
	v_add_co_u32 v36, s2, v32, s4
	s_wait_alu 0xf1ff
	v_add_co_ci_u32_e64 v37, s2, s5, v33, s2
	s_clause 0x1
	global_load_b128 v[16:19], v182, s[12:13] offset:2688
	global_load_b128 v[20:23], v182, s[12:13] offset:3360
	v_add_co_u32 v40, s2, v36, s4
	s_wait_alu 0xf1ff
	v_add_co_ci_u32_e64 v41, s2, s5, v37, s2
	s_clause 0x1
	global_load_b128 v[24:27], v182, s[12:13] offset:4032
	global_load_b128 v[28:31], v182, s[12:13] offset:4704
	v_add_co_u32 v44, s2, v40, s4
	s_wait_alu 0xf1ff
	v_add_co_ci_u32_e64 v45, s2, s5, v41, s2
	s_clause 0x1
	global_load_b128 v[32:35], v[32:33], off
	global_load_b128 v[36:39], v[36:37], off
	v_add_co_u32 v48, s2, v44, s4
	s_wait_alu 0xf1ff
	v_add_co_ci_u32_e64 v49, s2, s5, v45, s2
	s_clause 0x1
	global_load_b128 v[40:43], v[40:41], off
	global_load_b128 v[44:47], v[44:45], off
	v_add_co_u32 v52, s2, v48, s4
	s_wait_alu 0xf1ff
	v_add_co_ci_u32_e64 v53, s2, s5, v49, s2
	global_load_b128 v[48:51], v[48:49], off
	v_add_co_u32 v56, s2, v52, s4
	s_wait_alu 0xf1ff
	v_add_co_ci_u32_e64 v57, s2, s5, v53, s2
	;; [unrolled: 4-line block ×4, first 2 shown]
	s_delay_alu instid0(VALU_DEP_2) | instskip(SKIP_1) | instid1(VALU_DEP_2)
	v_add_co_u32 v76, s2, v64, s4
	s_wait_alu 0xf1ff
	v_add_co_ci_u32_e64 v77, s2, s5, v65, s2
	global_load_b128 v[60:63], v[60:61], off
	global_load_b128 v[64:67], v[64:65], off
	s_clause 0x1
	global_load_b128 v[68:71], v182, s[12:13] offset:5376
	global_load_b128 v[72:75], v182, s[12:13] offset:6048
	global_load_b128 v[76:79], v[76:77], off
	s_wait_loadcnt 0xb
	v_mul_f64_e32 v[80:81], v[34:35], v[2:3]
	v_mul_f64_e32 v[2:3], v[32:33], v[2:3]
	s_wait_loadcnt 0xa
	v_mul_f64_e32 v[82:83], v[38:39], v[6:7]
	v_mul_f64_e32 v[6:7], v[36:37], v[6:7]
	;; [unrolled: 3-line block ×10, first 2 shown]
	v_fma_f64 v[30:31], v[32:33], v[0:1], v[80:81]
	v_fma_f64 v[32:33], v[34:35], v[0:1], -v[2:3]
	v_fma_f64 v[0:1], v[36:37], v[4:5], v[82:83]
	v_fma_f64 v[2:3], v[38:39], v[4:5], -v[6:7]
	;; [unrolled: 2-line block ×10, first 2 shown]
	ds_store_b128 v182, v[30:33]
	ds_store_b128 v182, v[0:3] offset:672
	ds_store_b128 v182, v[4:7] offset:1344
	;; [unrolled: 1-line block ×9, first 2 shown]
.LBB0_3:
	s_or_b32 exec_lo, exec_lo, s3
	s_clause 0x1
	s_load_b64 s[4:5], s[0:1], 0x20
	s_load_b64 s[2:3], s[0:1], 0x8
	global_wb scope:SCOPE_SE
	s_wait_dscnt 0x0
	s_wait_kmcnt 0x0
	s_barrier_signal -1
	s_barrier_wait -1
	global_inv scope:SCOPE_SE
                                        ; implicit-def: $vgpr0_vgpr1
                                        ; implicit-def: $vgpr4_vgpr5
                                        ; implicit-def: $vgpr8_vgpr9
                                        ; implicit-def: $vgpr12_vgpr13
                                        ; implicit-def: $vgpr16_vgpr17
                                        ; implicit-def: $vgpr20_vgpr21
                                        ; implicit-def: $vgpr24_vgpr25
                                        ; implicit-def: $vgpr28_vgpr29
                                        ; implicit-def: $vgpr32_vgpr33
                                        ; implicit-def: $vgpr36_vgpr37
	s_and_saveexec_b32 s0, vcc_lo
	s_cbranch_execz .LBB0_5
; %bb.4:
	ds_load_b128 v[0:3], v182
	ds_load_b128 v[4:7], v182 offset:672
	ds_load_b128 v[8:11], v182 offset:1344
	;; [unrolled: 1-line block ×9, first 2 shown]
.LBB0_5:
	s_wait_alu 0xfffe
	s_or_b32 exec_lo, exec_lo, s0
	s_wait_dscnt 0x0
	v_add_f64_e32 v[42:43], v[14:15], v[38:39]
	v_add_f64_e32 v[44:45], v[12:13], v[36:37]
	;; [unrolled: 1-line block ×4, first 2 shown]
	v_add_f64_e64 v[60:61], v[14:15], -v[38:39]
	v_add_f64_e64 v[62:63], v[22:23], -v[30:31]
	;; [unrolled: 1-line block ×4, first 2 shown]
	s_mov_b32 s6, 0x134454ff
	s_mov_b32 s7, 0x3fee6f0e
	;; [unrolled: 1-line block ×3, first 2 shown]
	s_wait_alu 0xfffe
	s_mov_b32 s16, s6
	v_add_f64_e32 v[56:57], v[16:17], v[24:25]
	v_add_f64_e32 v[58:59], v[8:9], v[32:33]
	;; [unrolled: 1-line block ×4, first 2 shown]
	v_add_f64_e64 v[68:69], v[12:13], -v[20:21]
	v_add_f64_e64 v[70:71], v[36:37], -v[28:29]
	;; [unrolled: 1-line block ×8, first 2 shown]
	s_mov_b32 s0, 0x4755a5e
	s_mov_b32 s1, 0x3fe2cf23
	;; [unrolled: 1-line block ×3, first 2 shown]
	s_wait_alu 0xfffe
	s_mov_b32 s18, s0
	v_add_f64_e64 v[100:101], v[8:9], -v[32:33]
	v_add_f64_e64 v[52:53], v[16:17], -v[24:25]
	s_mov_b32 s10, 0x372fe950
	s_mov_b32 s11, 0x3fd3c6ef
	v_add_f64_e64 v[98:99], v[18:19], -v[10:11]
	v_add_f64_e64 v[102:103], v[26:27], -v[34:35]
	s_mov_b32 s14, 0x9b97f4a8
	s_mov_b32 s15, 0x3fe9e377
	v_mul_lo_u16 v183, v181, 10
	global_wb scope:SCOPE_SE
	v_fma_f64 v[50:51], v[42:43], -0.5, v[6:7]
	v_fma_f64 v[44:45], v[44:45], -0.5, v[4:5]
	;; [unrolled: 1-line block ×4, first 2 shown]
	v_add_f64_e64 v[46:47], v[10:11], -v[34:35]
	v_add_f64_e64 v[48:49], v[18:19], -v[26:27]
	s_barrier_signal -1
	s_barrier_wait -1
	global_inv scope:SCOPE_SE
	v_fma_f64 v[58:59], v[58:59], -0.5, v[0:1]
	v_add_f64_e32 v[104:105], v[68:69], v[70:71]
	v_add_f64_e32 v[68:69], v[82:83], v[84:85]
	v_add_f64_e64 v[84:85], v[8:9], -v[16:17]
	v_fma_f64 v[86:87], v[40:41], s[6:7], v[50:51]
	v_fma_f64 v[88:89], v[62:63], s[6:7], v[44:45]
	;; [unrolled: 1-line block ×6, first 2 shown]
	v_fma_f64 v[44:45], v[56:57], -0.5, v[0:1]
	v_fma_f64 v[50:51], v[64:65], -0.5, v[2:3]
	;; [unrolled: 1-line block ×3, first 2 shown]
	v_add_f64_e32 v[66:67], v[72:73], v[74:75]
	v_add_f64_e32 v[56:57], v[78:79], v[80:81]
	v_fma_f64 v[108:109], v[48:49], s[16:17], v[58:59]
	v_fma_f64 v[58:59], v[48:49], s[6:7], v[58:59]
	;; [unrolled: 1-line block ×8, first 2 shown]
	v_add_f64_e64 v[86:87], v[32:33], -v[24:25]
	v_add_f64_e64 v[88:89], v[16:17], -v[8:9]
	;; [unrolled: 1-line block ×5, first 2 shown]
	v_fma_f64 v[106:107], v[46:47], s[16:17], v[44:45]
	v_fma_f64 v[110:111], v[100:101], s[6:7], v[50:51]
	;; [unrolled: 1-line block ×4, first 2 shown]
	s_wait_alu 0xfffe
	v_fma_f64 v[70:71], v[68:69], s[10:11], v[70:71]
	v_fma_f64 v[72:73], v[66:67], s[10:11], v[72:73]
	;; [unrolled: 1-line block ×6, first 2 shown]
	v_add_f64_e32 v[90:91], v[84:85], v[86:87]
	v_add_f64_e32 v[82:83], v[98:99], v[102:103]
	;; [unrolled: 1-line block ×3, first 2 shown]
	v_fma_f64 v[84:85], v[46:47], s[0:1], v[108:109]
	v_add_f64_e32 v[92:93], v[94:95], v[96:97]
	v_fma_f64 v[80:81], v[48:49], s[18:19], v[106:107]
	v_fma_f64 v[86:87], v[46:47], s[18:19], v[58:59]
	;; [unrolled: 1-line block ×5, first 2 shown]
	v_mul_f64_e32 v[98:99], s[6:7], v[70:71]
	v_mul_f64_e32 v[102:103], s[10:11], v[72:73]
	;; [unrolled: 1-line block ×6, first 2 shown]
	v_fma_f64 v[58:59], v[78:79], s[10:11], v[84:85]
	v_fma_f64 v[80:81], v[90:91], s[10:11], v[80:81]
	;; [unrolled: 1-line block ×7, first 2 shown]
	v_fma_f64 v[84:85], v[68:69], s[6:7], -v[102:103]
	v_fma_f64 v[86:87], v[114:115], s[0:1], -v[106:107]
	v_fma_f64 v[98:99], v[70:71], s[10:11], v[108:109]
	v_fma_f64 v[102:103], v[72:73], s[16:17], -v[110:111]
	v_fma_f64 v[106:107], v[74:75], s[18:19], -v[112:113]
	v_add_f64_e64 v[68:69], v[58:59], -v[82:83]
	v_add_f64_e64 v[64:65], v[78:79], -v[84:85]
	;; [unrolled: 1-line block ×6, first 2 shown]
	s_and_saveexec_b32 s16, vcc_lo
	s_cbranch_execz .LBB0_7
; %bb.6:
	v_mul_f64_e32 v[60:61], s[6:7], v[60:61]
	v_mul_f64_e32 v[62:63], s[0:1], v[62:63]
	;; [unrolled: 1-line block ×3, first 2 shown]
	v_add_f64_e32 v[2:3], v[2:3], v[10:11]
	v_add_f64_e32 v[6:7], v[6:7], v[14:15]
	;; [unrolled: 1-line block ×4, first 2 shown]
	v_mul_f64_e32 v[8:9], s[0:1], v[40:41]
	v_mul_f64_e32 v[14:15], s[6:7], v[46:47]
	;; [unrolled: 1-line block ×4, first 2 shown]
	v_add_f64_e32 v[54:55], v[54:55], v[60:61]
	v_mul_f64_e32 v[60:61], s[6:7], v[100:101]
	v_mul_f64_e32 v[100:101], s[10:11], v[104:105]
	v_add_f64_e64 v[10:11], v[42:43], -v[76:77]
	v_add_f64_e32 v[2:3], v[2:3], v[18:19]
	v_add_f64_e32 v[6:7], v[6:7], v[22:23]
	;; [unrolled: 1-line block ×4, first 2 shown]
	v_mul_f64_e32 v[42:43], s[0:1], v[52:53]
	v_mul_f64_e32 v[18:19], s[10:11], v[92:93]
	v_add_f64_e32 v[12:13], v[62:63], v[54:55]
	v_add_f64_e64 v[16:17], v[50:51], -v[60:61]
	v_add_f64_e64 v[8:9], v[10:11], -v[8:9]
	v_add_f64_e32 v[2:3], v[2:3], v[26:27]
	v_add_f64_e32 v[6:7], v[6:7], v[30:31]
	;; [unrolled: 1-line block ×6, first 2 shown]
	v_mul_f64_e32 v[14:15], s[10:11], v[90:91]
	v_add_f64_e64 v[16:17], v[16:17], -v[42:43]
	v_add_f64_e32 v[8:9], v[46:47], v[8:9]
	v_add_f64_e32 v[22:23], v[2:3], v[34:35]
	v_add_f64_e32 v[24:25], v[6:7], v[38:39]
	v_add_f64_e32 v[26:27], v[0:1], v[32:33]
	v_add_f64_e32 v[28:29], v[4:5], v[36:37]
	v_add_f64_e32 v[6:7], v[94:95], v[102:103]
	v_add_f64_e32 v[4:5], v[78:79], v[84:85]
	v_add_f64_e32 v[2:3], v[96:97], v[106:107]
	v_add_f64_e32 v[0:1], v[80:81], v[86:87]
	v_mul_f64_e32 v[20:21], s[0:1], v[10:11]
	v_add_f64_e32 v[12:13], v[40:41], v[12:13]
	v_mul_f64_e32 v[10:11], s[14:15], v[10:11]
	v_add_f64_e32 v[30:31], v[18:19], v[16:17]
	v_add_f64_e32 v[18:19], v[22:23], v[24:25]
	;; [unrolled: 1-line block ×3, first 2 shown]
	v_fma_f64 v[20:21], v[8:9], s[14:15], -v[20:21]
	v_add_f64_e32 v[32:33], v[14:15], v[12:13]
	v_fma_f64 v[34:35], v[8:9], s[0:1], v[10:11]
	v_add_f64_e32 v[10:11], v[88:89], v[98:99]
	v_add_f64_e32 v[8:9], v[58:59], v[82:83]
	v_add_f64_e64 v[14:15], v[22:23], -v[24:25]
	v_add_f64_e64 v[12:13], v[26:27], -v[28:29]
	v_and_b32_e32 v28, 0xffff, v183
	s_delay_alu instid0(VALU_DEP_1)
	v_lshlrev_b32_e32 v28, 4, v28
	v_add_f64_e32 v[26:27], v[30:31], v[20:21]
	v_add_f64_e64 v[22:23], v[30:31], -v[20:21]
	v_add_f64_e32 v[24:25], v[32:33], v[34:35]
	v_add_f64_e64 v[20:21], v[32:33], -v[34:35]
	ds_store_b128 v28, v[8:11] offset:32
	ds_store_b128 v28, v[4:7] offset:48
	;; [unrolled: 1-line block ×4, first 2 shown]
	ds_store_b128 v28, v[16:19]
	ds_store_b128 v28, v[24:27] offset:16
	ds_store_b128 v28, v[20:23] offset:96
	;; [unrolled: 1-line block ×5, first 2 shown]
.LBB0_7:
	s_wait_alu 0xfffe
	s_or_b32 exec_lo, exec_lo, s16
	v_and_b32_e32 v0, 0xff, v181
	s_load_b128 s[4:7], s[4:5], 0x0
	global_wb scope:SCOPE_SE
	s_wait_dscnt 0x0
	s_wait_kmcnt 0x0
	s_barrier_signal -1
	s_barrier_wait -1
	v_mul_lo_u16 v0, 0xcd, v0
	global_inv scope:SCOPE_SE
	s_mov_b32 s0, 0x37e14327
	s_mov_b32 s1, 0x3fe948f6
	;; [unrolled: 1-line block ×3, first 2 shown]
	v_lshrrev_b16 v84, 11, v0
	s_mov_b32 s14, 0xe976ee23
	s_mov_b32 s11, 0x3fac98ee
	;; [unrolled: 1-line block ×4, first 2 shown]
	v_mul_lo_u16 v0, v84, 10
	s_mov_b32 s16, 0x5476071b
	s_mov_b32 s19, 0x3fd5d0dc
	;; [unrolled: 1-line block ×3, first 2 shown]
                                        ; implicit-def: $vgpr92_vgpr93
                                        ; implicit-def: $vgpr108_vgpr109
	s_delay_alu instid0(VALU_DEP_1) | instskip(NEXT) | instid1(VALU_DEP_1)
	v_sub_nc_u16 v0, v181, v0
	v_and_b32_e32 v85, 0xff, v0
	s_delay_alu instid0(VALU_DEP_1) | instskip(NEXT) | instid1(VALU_DEP_1)
	v_mul_u32_u24_e32 v0, 6, v85
	v_lshlrev_b32_e32 v0, 4, v0
	s_clause 0x5
	global_load_b128 v[24:27], v0, s[2:3]
	global_load_b128 v[20:23], v0, s[2:3] offset:16
	global_load_b128 v[28:31], v0, s[2:3] offset:80
	;; [unrolled: 1-line block ×5, first 2 shown]
	ds_load_b128 v[0:3], v182 offset:960
	ds_load_b128 v[4:7], v182 offset:1920
	ds_load_b128 v[8:11], v182 offset:5760
	ds_load_b128 v[12:15], v182 offset:4800
	ds_load_b128 v[16:19], v182 offset:2880
	ds_load_b128 v[44:47], v182 offset:3840
	s_wait_loadcnt_dscnt 0x505
	v_mul_f64_e32 v[48:49], v[2:3], v[26:27]
	v_mul_f64_e32 v[50:51], v[0:1], v[26:27]
	s_wait_loadcnt_dscnt 0x404
	v_mul_f64_e32 v[52:53], v[6:7], v[22:23]
	v_mul_f64_e32 v[54:55], v[4:5], v[22:23]
	;; [unrolled: 3-line block ×6, first 2 shown]
	v_fma_f64 v[0:1], v[0:1], v[24:25], -v[48:49]
	v_fma_f64 v[2:3], v[2:3], v[24:25], v[50:51]
	v_fma_f64 v[4:5], v[4:5], v[20:21], -v[52:53]
	v_fma_f64 v[6:7], v[6:7], v[20:21], v[54:55]
	;; [unrolled: 2-line block ×6, first 2 shown]
	v_add_f64_e32 v[48:49], v[0:1], v[8:9]
	v_add_f64_e32 v[50:51], v[2:3], v[10:11]
	;; [unrolled: 1-line block ×4, first 2 shown]
	v_add_f64_e64 v[4:5], v[4:5], -v[12:13]
	v_add_f64_e64 v[6:7], v[6:7], -v[14:15]
	v_add_f64_e32 v[56:57], v[16:17], v[44:45]
	v_add_f64_e32 v[58:59], v[18:19], v[46:47]
	v_add_f64_e64 v[12:13], v[44:45], -v[16:17]
	v_add_f64_e64 v[14:15], v[46:47], -v[18:19]
	;; [unrolled: 1-line block ×4, first 2 shown]
	v_add_f64_e32 v[0:1], v[52:53], v[48:49]
	v_add_f64_e32 v[2:3], v[54:55], v[50:51]
	v_add_f64_e64 v[16:17], v[48:49], -v[56:57]
	v_add_f64_e64 v[18:19], v[50:51], -v[58:59]
	;; [unrolled: 1-line block ×10, first 2 shown]
	v_add_f64_e32 v[4:5], v[12:13], v[4:5]
	v_add_f64_e32 v[6:7], v[14:15], v[6:7]
	v_add_f64_e64 v[12:13], v[8:9], -v[12:13]
	v_add_f64_e64 v[14:15], v[10:11], -v[14:15]
	v_add_f64_e32 v[56:57], v[56:57], v[0:1]
	v_add_f64_e32 v[58:59], v[58:59], v[2:3]
	ds_load_b128 v[0:3], v182
	global_wb scope:SCOPE_SE
	s_wait_dscnt 0x0
	s_wait_alu 0xfffe
	v_mul_f64_e32 v[16:17], s[0:1], v[16:17]
	v_mul_f64_e32 v[18:19], s[0:1], v[18:19]
	s_mov_b32 s0, 0x429ad128
	v_mul_f64_e32 v[52:53], s[10:11], v[44:45]
	v_mul_f64_e32 v[54:55], s[10:11], v[46:47]
	;; [unrolled: 1-line block ×4, first 2 shown]
	s_mov_b32 s1, 0x3febfeb5
	s_mov_b32 s14, 0xaaaaaaaa
	s_wait_alu 0xfffe
	v_mul_f64_e32 v[80:81], s[0:1], v[76:77]
	v_mul_f64_e32 v[82:83], s[0:1], v[78:79]
	s_mov_b32 s15, 0xbff2aaaa
	v_add_f64_e32 v[4:5], v[4:5], v[8:9]
	v_add_f64_e32 v[6:7], v[6:7], v[10:11]
	s_barrier_signal -1
	s_barrier_wait -1
	global_inv scope:SCOPE_SE
	v_add_f64_e32 v[0:1], v[0:1], v[56:57]
	v_add_f64_e32 v[2:3], v[2:3], v[58:59]
	v_fma_f64 v[8:9], v[44:45], s[10:11], v[16:17]
	v_fma_f64 v[10:11], v[46:47], s[10:11], v[18:19]
	v_fma_f64 v[44:45], v[48:49], s[16:17], -v[52:53]
	v_fma_f64 v[46:47], v[50:51], s[16:17], -v[54:55]
	s_mov_b32 s17, 0xbfe77f67
	v_fma_f64 v[52:53], v[12:13], s[18:19], v[60:61]
	v_fma_f64 v[54:55], v[14:15], s[18:19], v[62:63]
	s_mov_b32 s19, 0xbfd5d0dc
	v_fma_f64 v[60:61], v[76:77], s[0:1], -v[60:61]
	v_fma_f64 v[62:63], v[78:79], s[0:1], -v[62:63]
	s_wait_alu 0xfffe
	v_fma_f64 v[12:13], v[12:13], s[18:19], -v[80:81]
	v_fma_f64 v[14:15], v[14:15], s[18:19], -v[82:83]
	;; [unrolled: 1-line block ×4, first 2 shown]
	s_mov_b32 s0, 0x37c3f68c
	s_mov_b32 s1, 0x3fdc38aa
	v_fma_f64 v[56:57], v[56:57], s[14:15], v[0:1]
	v_fma_f64 v[58:59], v[58:59], s[14:15], v[2:3]
	s_wait_alu 0xfffe
	v_fma_f64 v[48:49], v[4:5], s[0:1], v[52:53]
	v_fma_f64 v[50:51], v[6:7], s[0:1], v[54:55]
	;; [unrolled: 1-line block ×6, first 2 shown]
	v_cmp_gt_u16_e64 s0, 10, v181
	v_add_f64_e32 v[76:77], v[8:9], v[56:57]
	v_add_f64_e32 v[78:79], v[10:11], v[58:59]
	;; [unrolled: 1-line block ×7, first 2 shown]
	v_add_f64_e64 v[6:7], v[78:79], -v[48:49]
	v_add_f64_e32 v[8:9], v[62:63], v[80:81]
	v_add_f64_e64 v[10:11], v[82:83], -v[60:61]
	v_add_f64_e64 v[12:13], v[16:17], -v[54:55]
	v_add_f64_e32 v[14:15], v[52:53], v[18:19]
	v_add_f64_e32 v[16:17], v[54:55], v[16:17]
	v_add_f64_e64 v[18:19], v[18:19], -v[52:53]
	v_add_f64_e64 v[44:45], v[80:81], -v[62:63]
	v_add_f64_e32 v[46:47], v[60:61], v[82:83]
	v_add_f64_e64 v[76:77], v[76:77], -v[50:51]
	v_add_f64_e32 v[78:79], v[48:49], v[78:79]
	v_and_b32_e32 v48, 0xffff, v84
	s_delay_alu instid0(VALU_DEP_1) | instskip(NEXT) | instid1(VALU_DEP_1)
	v_mul_u32_u24_e32 v48, 0x46, v48
	v_add_lshl_u32 v184, v48, v85, 4
	ds_store_b128 v184, v[0:3]
	ds_store_b128 v184, v[4:7] offset:160
	ds_store_b128 v184, v[8:11] offset:320
	;; [unrolled: 1-line block ×6, first 2 shown]
	global_wb scope:SCOPE_SE
	s_wait_dscnt 0x0
	s_barrier_signal -1
	s_barrier_wait -1
	global_inv scope:SCOPE_SE
	ds_load_b128 v[80:83], v182
	ds_load_b128 v[96:99], v182 offset:1120
	ds_load_b128 v[84:87], v182 offset:2240
	;; [unrolled: 1-line block ×5, first 2 shown]
	s_and_saveexec_b32 s1, s0
	s_cbranch_execz .LBB0_9
; %bb.8:
	ds_load_b128 v[76:79], v182 offset:960
	ds_load_b128 v[68:71], v182 offset:2080
	ds_load_b128 v[64:67], v182 offset:3200
	ds_load_b128 v[72:75], v182 offset:4320
	ds_load_b128 v[92:95], v182 offset:5440
	ds_load_b128 v[108:111], v182 offset:6560
.LBB0_9:
	s_wait_alu 0xfffe
	s_or_b32 exec_lo, exec_lo, s1
	v_add_nc_u32_e32 v0, 60, v181
	v_add_nc_u32_e32 v1, -10, v181
	v_mad_co_u64_u32 v[8:9], null, 0x50, v181, s[2:3]
	s_mov_b32 s11, 0xbfebb67a
	s_delay_alu instid0(VALU_DEP_2)
	v_cndmask_b32_e64 v0, v1, v0, s0
	s_clause 0x1
	global_load_b128 v[44:47], v[8:9], off offset:992
	global_load_b128 v[48:51], v[8:9], off offset:1024
	v_mul_i32_i24_e32 v1, 0x50, v0
	v_mul_hi_i32_i24_e32 v0, 0x50, v0
	s_delay_alu instid0(VALU_DEP_2) | instskip(SKIP_1) | instid1(VALU_DEP_2)
	v_add_co_u32 v10, s1, s2, v1
	s_wait_alu 0xf1ff
	v_add_co_ci_u32_e64 v11, s1, s3, v0, s1
	s_mov_b32 s2, 0xe8584caa
	s_clause 0x7
	global_load_b128 v[0:3], v[10:11], off offset:992
	global_load_b128 v[16:19], v[10:11], off offset:1024
	;; [unrolled: 1-line block ×8, first 2 shown]
	s_mov_b32 s3, 0x3febb67a
	s_wait_alu 0xfffe
	s_mov_b32 s10, s2
	s_wait_loadcnt_dscnt 0x902
	v_mul_f64_e32 v[112:113], v[102:103], v[46:47]
	v_mul_f64_e32 v[114:115], v[100:101], v[46:47]
	s_wait_loadcnt_dscnt 0x800
	v_mul_f64_e32 v[116:117], v[104:105], v[50:51]
	v_mul_f64_e32 v[118:119], v[106:107], v[50:51]
	s_wait_loadcnt 0x7
	v_mul_f64_e32 v[120:121], v[74:75], v[2:3]
	v_mul_f64_e32 v[122:123], v[72:73], v[2:3]
	s_wait_loadcnt 0x6
	;; [unrolled: 3-line block ×4, first 2 shown]
	v_mul_f64_e32 v[133:134], v[94:95], v[10:11]
	v_mul_f64_e32 v[135:136], v[92:93], v[10:11]
	v_fma_f64 v[100:101], v[100:101], v[44:45], -v[112:113]
	v_fma_f64 v[102:103], v[102:103], v[44:45], v[114:115]
	v_fma_f64 v[106:107], v[106:107], v[48:49], v[116:117]
	v_fma_f64 v[104:105], v[104:105], v[48:49], -v[118:119]
	v_mul_f64_e32 v[112:113], v[70:71], v[6:7]
	v_mul_f64_e32 v[114:115], v[68:69], v[6:7]
	v_mul_f64_e32 v[116:117], v[86:87], v[62:63]
	v_fma_f64 v[72:73], v[72:73], v[0:1], -v[120:121]
	v_fma_f64 v[74:75], v[74:75], v[0:1], v[122:123]
	v_fma_f64 v[110:111], v[110:111], v[16:17], v[125:126]
	v_fma_f64 v[108:109], v[108:109], v[16:17], -v[127:128]
	v_mul_f64_e32 v[118:119], v[84:85], v[62:63]
	v_mul_f64_e32 v[120:121], v[90:91], v[58:59]
	;; [unrolled: 1-line block ×3, first 2 shown]
	v_fma_f64 v[96:97], v[96:97], v[52:53], -v[129:130]
	v_fma_f64 v[98:99], v[98:99], v[52:53], v[131:132]
	v_mul_f64_e32 v[129:130], v[66:67], v[14:15]
	v_mul_f64_e32 v[131:132], v[64:65], v[14:15]
	v_fma_f64 v[92:93], v[92:93], v[8:9], -v[133:134]
	v_fma_f64 v[94:95], v[94:95], v[8:9], v[135:136]
	v_add_f64_e32 v[125:126], v[102:103], v[106:107]
	v_add_f64_e32 v[127:128], v[100:101], v[104:105]
	v_fma_f64 v[68:69], v[68:69], v[4:5], -v[112:113]
	v_fma_f64 v[70:71], v[70:71], v[4:5], v[114:115]
	v_fma_f64 v[84:85], v[84:85], v[60:61], -v[116:117]
	v_add_f64_e64 v[116:117], v[102:103], -v[106:107]
	v_add_f64_e32 v[112:113], v[74:75], v[110:111]
	v_add_f64_e32 v[114:115], v[72:73], v[108:109]
	v_fma_f64 v[86:87], v[86:87], v[60:61], v[118:119]
	v_fma_f64 v[88:89], v[88:89], v[56:57], -v[120:121]
	v_fma_f64 v[90:91], v[90:91], v[56:57], v[122:123]
	v_add_f64_e64 v[118:119], v[100:101], -v[104:105]
	v_fma_f64 v[64:65], v[64:65], v[12:13], -v[129:130]
	v_fma_f64 v[66:67], v[66:67], v[12:13], v[131:132]
	v_fma_f64 v[120:121], v[125:126], -0.5, v[98:99]
	v_fma_f64 v[122:123], v[127:128], -0.5, v[96:97]
	v_add_f64_e64 v[125:126], v[74:75], -v[110:111]
	v_add_f64_e64 v[127:128], v[72:73], -v[108:109]
	v_add_f64_e32 v[96:97], v[96:97], v[100:101]
	v_add_f64_e32 v[98:99], v[98:99], v[102:103]
	v_fma_f64 v[112:113], v[112:113], -0.5, v[70:71]
	v_fma_f64 v[114:115], v[114:115], -0.5, v[68:69]
	v_add_f64_e32 v[68:69], v[68:69], v[72:73]
	v_add_f64_e32 v[129:130], v[84:85], v[88:89]
	;; [unrolled: 1-line block ×4, first 2 shown]
	v_add_f64_e64 v[74:75], v[84:85], -v[88:89]
	v_add_f64_e32 v[100:101], v[76:77], v[64:65]
	v_add_f64_e32 v[102:103], v[78:79], v[66:67]
	s_wait_alu 0xfffe
	v_fma_f64 v[133:134], v[118:119], s[10:11], v[120:121]
	v_fma_f64 v[135:136], v[116:117], s[10:11], v[122:123]
	;; [unrolled: 1-line block ×4, first 2 shown]
	v_add_f64_e32 v[120:121], v[64:65], v[92:93]
	v_add_f64_e32 v[122:123], v[66:67], v[94:95]
	v_add_f64_e64 v[66:67], v[66:67], -v[94:95]
	v_fma_f64 v[137:138], v[127:128], s[10:11], v[112:113]
	v_fma_f64 v[139:140], v[125:126], s[10:11], v[114:115]
	;; [unrolled: 1-line block ×4, first 2 shown]
	v_add_f64_e32 v[125:126], v[80:81], v[84:85]
	v_add_f64_e64 v[127:128], v[86:87], -v[90:91]
	v_add_f64_e32 v[86:87], v[82:83], v[86:87]
	v_fma_f64 v[72:73], v[129:130], -0.5, v[80:81]
	v_fma_f64 v[80:81], v[131:132], -0.5, v[82:83]
	v_add_f64_e64 v[64:65], v[64:65], -v[92:93]
	v_add_f64_e32 v[92:93], v[100:101], v[92:93]
	v_add_f64_e32 v[94:95], v[102:103], v[94:95]
	v_add_f64_e32 v[68:69], v[68:69], v[108:109]
	v_add_f64_e32 v[70:71], v[70:71], v[110:111]
	v_mul_f64_e32 v[82:83], s[2:3], v[133:134]
	v_mul_f64_e32 v[84:85], -0.5, v[135:136]
	v_mul_f64_e32 v[129:130], s[10:11], v[116:117]
	v_mul_f64_e32 v[131:132], -0.5, v[118:119]
	v_fma_f64 v[76:77], v[120:121], -0.5, v[76:77]
	v_fma_f64 v[78:79], v[122:123], -0.5, v[78:79]
	v_mul_f64_e32 v[120:121], s[2:3], v[137:138]
	v_mul_f64_e32 v[122:123], -0.5, v[139:140]
	v_mul_f64_e32 v[141:142], s[10:11], v[114:115]
	v_mul_f64_e32 v[143:144], -0.5, v[112:113]
	v_add_f64_e32 v[88:89], v[125:126], v[88:89]
	v_add_f64_e32 v[86:87], v[86:87], v[90:91]
	;; [unrolled: 1-line block ×4, first 2 shown]
	v_fma_f64 v[98:99], v[127:128], s[2:3], v[72:73]
	v_fma_f64 v[104:105], v[127:128], s[10:11], v[72:73]
	;; [unrolled: 1-line block ×4, first 2 shown]
	v_add_f64_e32 v[100:101], v[92:93], v[68:69]
	v_add_f64_e32 v[102:103], v[94:95], v[70:71]
	v_fma_f64 v[82:83], v[116:117], 0.5, v[82:83]
	v_fma_f64 v[108:109], v[118:119], s[2:3], v[84:85]
	v_fma_f64 v[110:111], v[133:134], 0.5, v[129:130]
	v_fma_f64 v[125:126], v[135:136], s[10:11], v[131:132]
	v_fma_f64 v[127:128], v[66:67], s[2:3], v[76:77]
	v_fma_f64 v[66:67], v[66:67], s[10:11], v[76:77]
	v_fma_f64 v[129:130], v[64:65], s[10:11], v[78:79]
	v_fma_f64 v[131:132], v[64:65], s[2:3], v[78:79]
	v_fma_f64 v[64:65], v[114:115], 0.5, v[120:121]
	v_fma_f64 v[133:134], v[112:113], s[2:3], v[122:123]
	v_fma_f64 v[135:136], v[137:138], 0.5, v[141:142]
	v_fma_f64 v[137:138], v[139:140], s[10:11], v[143:144]
	v_add_f64_e64 v[116:117], v[92:93], -v[68:69]
	v_add_f64_e64 v[118:119], v[94:95], -v[70:71]
	v_add_f64_e32 v[72:73], v[88:89], v[90:91]
	v_add_f64_e32 v[74:75], v[86:87], v[96:97]
	v_add_f64_e64 v[84:85], v[88:89], -v[90:91]
	v_add_f64_e64 v[86:87], v[86:87], -v[96:97]
	v_add_f64_e32 v[76:77], v[98:99], v[82:83]
	v_add_f64_e32 v[88:89], v[104:105], v[108:109]
	;; [unrolled: 1-line block ×4, first 2 shown]
	v_add_f64_e64 v[96:97], v[98:99], -v[82:83]
	v_add_f64_e64 v[108:109], v[104:105], -v[108:109]
	;; [unrolled: 1-line block ×4, first 2 shown]
	v_add_f64_e32 v[112:113], v[127:128], v[64:65]
	v_add_f64_e32 v[120:121], v[66:67], v[133:134]
	;; [unrolled: 1-line block ×4, first 2 shown]
	v_add_f64_e64 v[64:65], v[127:128], -v[64:65]
	v_add_f64_e64 v[68:69], v[66:67], -v[133:134]
	;; [unrolled: 1-line block ×4, first 2 shown]
	ds_store_b128 v182, v[72:75]
	ds_store_b128 v182, v[76:79] offset:1120
	ds_store_b128 v182, v[88:91] offset:2240
	;; [unrolled: 1-line block ×5, first 2 shown]
	s_and_saveexec_b32 s1, s0
	s_cbranch_execz .LBB0_11
; %bb.10:
	ds_store_b128 v182, v[100:103] offset:960
	ds_store_b128 v182, v[112:115] offset:2080
	;; [unrolled: 1-line block ×6, first 2 shown]
.LBB0_11:
	s_wait_alu 0xfffe
	s_or_b32 exec_lo, exec_lo, s1
	global_wb scope:SCOPE_SE
	s_wait_dscnt 0x0
	s_barrier_signal -1
	s_barrier_wait -1
	global_inv scope:SCOPE_SE
	s_and_saveexec_b32 s1, vcc_lo
	s_cbranch_execz .LBB0_13
; %bb.12:
	s_add_nc_u64 s[2:3], s[12:13], 0x1a40
	s_clause 0x9
	global_load_b128 v[80:83], v182, s[12:13] offset:6720
	global_load_b128 v[92:95], v182, s[2:3] offset:672
	;; [unrolled: 1-line block ×10, first 2 shown]
	ds_load_b128 v[153:156], v182
	ds_load_b128 v[157:160], v182 offset:672
	ds_load_b128 v[161:164], v182 offset:1344
	;; [unrolled: 1-line block ×9, first 2 shown]
	s_wait_loadcnt_dscnt 0x909
	v_mul_f64_e32 v[197:198], v[155:156], v[82:83]
	v_mul_f64_e32 v[82:83], v[153:154], v[82:83]
	s_wait_loadcnt_dscnt 0x808
	v_mul_f64_e32 v[199:200], v[159:160], v[94:95]
	v_mul_f64_e32 v[94:95], v[157:158], v[94:95]
	;; [unrolled: 3-line block ×10, first 2 shown]
	v_fma_f64 v[151:152], v[153:154], v[80:81], -v[197:198]
	v_fma_f64 v[153:154], v[155:156], v[80:81], v[82:83]
	v_fma_f64 v[80:81], v[157:158], v[92:93], -v[199:200]
	v_fma_f64 v[82:83], v[159:160], v[92:93], v[94:95]
	;; [unrolled: 2-line block ×10, first 2 shown]
	ds_store_b128 v182, v[151:154]
	ds_store_b128 v182, v[80:83] offset:672
	ds_store_b128 v182, v[92:95] offset:1344
	;; [unrolled: 1-line block ×9, first 2 shown]
.LBB0_13:
	s_wait_alu 0xfffe
	s_or_b32 exec_lo, exec_lo, s1
	global_wb scope:SCOPE_SE
	s_wait_dscnt 0x0
	s_barrier_signal -1
	s_barrier_wait -1
	global_inv scope:SCOPE_SE
	s_and_saveexec_b32 s1, vcc_lo
	s_cbranch_execz .LBB0_15
; %bb.14:
	ds_load_b128 v[72:75], v182
	ds_load_b128 v[76:79], v182 offset:672
	ds_load_b128 v[88:91], v182 offset:1344
	;; [unrolled: 1-line block ×9, first 2 shown]
.LBB0_15:
	s_wait_alu 0xfffe
	s_or_b32 exec_lo, exec_lo, s1
	s_wait_dscnt 0x0
	v_add_f64_e32 v[80:81], v[86:87], v[118:119]
	v_add_f64_e32 v[82:83], v[110:111], v[114:115]
	;; [unrolled: 1-line block ×4, first 2 shown]
	v_add_f64_e64 v[139:140], v[108:109], -v[112:113]
	v_add_f64_e64 v[141:142], v[84:85], -v[116:117]
	s_mov_b32 s10, 0x134454ff
	s_mov_b32 s11, 0x3fee6f0e
	;; [unrolled: 1-line block ×3, first 2 shown]
	s_wait_alu 0xfffe
	s_mov_b32 s18, s10
	v_add_f64_e32 v[104:105], v[88:89], v[120:121]
	v_add_f64_e32 v[106:107], v[98:99], v[102:103]
	;; [unrolled: 1-line block ×3, first 2 shown]
	v_add_f64_e64 v[161:162], v[86:87], -v[118:119]
	v_add_f64_e64 v[151:152], v[110:111], -v[114:115]
	;; [unrolled: 1-line block ×6, first 2 shown]
	s_mov_b32 s2, 0x4755a5e
	s_mov_b32 s3, 0x3fe2cf23
	;; [unrolled: 1-line block ×3, first 2 shown]
	s_wait_alu 0xfffe
	s_mov_b32 s20, s2
	v_add_f64_e64 v[159:160], v[90:91], -v[122:123]
	v_add_f64_e64 v[127:128], v[98:99], -v[102:103]
	;; [unrolled: 1-line block ×8, first 2 shown]
	s_mov_b32 s14, 0x372fe950
	s_mov_b32 s15, 0x3fd3c6ef
	v_add_f64_e64 v[169:170], v[120:121], -v[100:101]
	v_add_f64_e64 v[171:172], v[96:97], -v[88:89]
	;; [unrolled: 1-line block ×5, first 2 shown]
	v_fma_f64 v[80:81], v[80:81], -0.5, v[78:79]
	v_fma_f64 v[135:136], v[82:83], -0.5, v[78:79]
	v_add_f64_e32 v[82:83], v[96:97], v[100:101]
	v_fma_f64 v[155:156], v[92:93], -0.5, v[76:77]
	v_fma_f64 v[92:93], v[94:95], -0.5, v[76:77]
	v_add_f64_e64 v[179:180], v[98:99], -v[90:91]
	v_add_f64_e64 v[185:186], v[102:103], -v[122:123]
	s_mov_b32 s23, 0xbfd3c6ef
	s_mov_b32 s17, 0xbfe9e377
	;; [unrolled: 1-line block ×3, first 2 shown]
	s_wait_alu 0xfffe
	s_mov_b32 s22, s14
	v_fma_f64 v[131:132], v[106:107], -0.5, v[74:75]
	global_wb scope:SCOPE_SE
	s_barrier_signal -1
	s_barrier_wait -1
	global_inv scope:SCOPE_SE
	v_add_f64_e32 v[106:107], v[147:148], v[149:150]
	v_add_f64_e64 v[149:150], v[88:89], -v[96:97]
	v_fma_f64 v[94:95], v[139:140], s[18:19], v[80:81]
	v_fma_f64 v[80:81], v[139:140], s[10:11], v[80:81]
	v_fma_f64 v[153:154], v[141:142], s[18:19], v[135:136]
	v_fma_f64 v[129:130], v[82:83], -0.5, v[72:73]
	v_fma_f64 v[82:83], v[104:105], -0.5, v[72:73]
	;; [unrolled: 1-line block ×3, first 2 shown]
	v_add_f64_e32 v[137:138], v[143:144], v[145:146]
	v_fma_f64 v[143:144], v[161:162], s[10:11], v[155:156]
	v_fma_f64 v[145:146], v[151:152], s[10:11], v[92:93]
	;; [unrolled: 1-line block ×4, first 2 shown]
	v_add_f64_e32 v[169:170], v[149:150], v[169:170]
	v_add_f64_e32 v[149:150], v[171:172], v[173:174]
	;; [unrolled: 1-line block ×3, first 2 shown]
	v_fma_f64 v[94:95], v[141:142], s[2:3], v[94:95]
	v_fma_f64 v[80:81], v[141:142], s[20:21], v[80:81]
	;; [unrolled: 1-line block ×3, first 2 shown]
	v_add_f64_e32 v[153:154], v[157:158], v[163:164]
	v_add_f64_e32 v[157:158], v[165:166], v[167:168]
	v_fma_f64 v[163:164], v[159:160], s[10:11], v[129:130]
	v_fma_f64 v[167:168], v[127:128], s[10:11], v[82:83]
	v_fma_f64 v[82:83], v[127:128], s[18:19], v[82:83]
	v_fma_f64 v[189:190], v[125:126], s[18:19], v[104:105]
	v_fma_f64 v[104:105], v[125:126], s[10:11], v[104:105]
	v_fma_f64 v[143:144], v[151:152], s[2:3], v[143:144]
	v_fma_f64 v[145:146], v[161:162], s[20:21], v[145:146]
	v_fma_f64 v[92:93], v[161:162], s[2:3], v[92:93]
	v_add_f64_e32 v[165:166], v[175:176], v[177:178]
	v_fma_f64 v[94:95], v[106:107], s[14:15], v[94:95]
	v_fma_f64 v[80:81], v[106:107], s[14:15], v[80:81]
	;; [unrolled: 1-line block ×12, first 2 shown]
	v_mul_f64_e32 v[157:158], s[18:19], v[94:95]
	v_mul_f64_e32 v[185:186], s[18:19], v[80:81]
	;; [unrolled: 1-line block ×6, first 2 shown]
	v_fma_f64 v[147:148], v[169:170], s[14:15], v[147:148]
	v_fma_f64 v[143:144], v[149:150], s[14:15], v[163:164]
	;; [unrolled: 1-line block ×12, first 2 shown]
	v_add_f64_e64 v[80:81], v[143:144], -v[149:150]
	v_add_f64_e64 v[92:93], v[145:146], -v[157:158]
	;; [unrolled: 1-line block ×6, first 2 shown]
	s_and_saveexec_b32 s1, vcc_lo
	s_cbranch_execz .LBB0_17
; %bb.16:
	v_mul_f64_e32 v[161:162], s[10:11], v[161:162]
	v_mul_f64_e32 v[141:142], s[10:11], v[141:142]
	;; [unrolled: 1-line block ×4, first 2 shown]
	v_add_f64_e32 v[74:75], v[74:75], v[90:91]
	v_add_f64_e32 v[78:79], v[78:79], v[86:87]
	;; [unrolled: 1-line block ×4, first 2 shown]
	v_mul_f64_e32 v[84:85], s[10:11], v[133:134]
	v_mul_f64_e32 v[86:87], s[14:15], v[153:154]
	;; [unrolled: 1-line block ×4, first 2 shown]
	s_mov_b32 s17, 0x3fe9e377
	v_add_f64_e64 v[155:156], v[155:156], -v[161:162]
	v_add_f64_e32 v[135:136], v[135:136], v[141:142]
	v_mul_f64_e32 v[141:142], s[10:11], v[159:160]
	v_add_f64_e32 v[74:75], v[74:75], v[98:99]
	v_add_f64_e32 v[78:79], v[78:79], v[110:111]
	v_add_f64_e32 v[72:73], v[72:73], v[96:97]
	v_add_f64_e32 v[76:77], v[76:77], v[108:109]
	v_mul_f64_e32 v[96:97], s[2:3], v[125:126]
	v_add_f64_e32 v[84:85], v[131:132], v[84:85]
	v_mul_f64_e32 v[98:99], s[14:15], v[169:170]
	v_add_f64_e64 v[88:89], v[155:156], -v[151:152]
	v_add_f64_e32 v[133:134], v[139:140], v[135:136]
	v_add_f64_e32 v[74:75], v[74:75], v[102:103]
	;; [unrolled: 1-line block ×5, first 2 shown]
	v_mul_f64_e32 v[100:101], s[14:15], v[165:166]
	v_add_f64_e32 v[84:85], v[96:97], v[84:85]
	v_add_f64_e32 v[86:87], v[86:87], v[88:89]
	v_add_f64_e64 v[88:89], v[129:130], -v[141:142]
	v_add_f64_e32 v[90:91], v[90:91], v[133:134]
	v_add_f64_e32 v[108:109], v[74:75], v[122:123]
	;; [unrolled: 1-line block ×11, first 2 shown]
	v_mul_f64_e32 v[96:97], s[2:3], v[86:87]
	v_add_f64_e64 v[88:89], v[88:89], -v[127:128]
	v_mul_f64_e32 v[102:103], s[2:3], v[90:91]
	s_wait_alu 0xfffe
	s_delay_alu instid0(VALU_DEP_3) | instskip(NEXT) | instid1(VALU_DEP_3)
	v_fma_f64 v[116:117], v[90:91], s[16:17], v[96:97]
	v_add_f64_e32 v[118:119], v[98:99], v[88:89]
	s_delay_alu instid0(VALU_DEP_3)
	v_fma_f64 v[120:121], v[86:87], s[16:17], -v[102:103]
	v_add_f64_e32 v[86:87], v[167:168], v[175:176]
	v_add_f64_e64 v[90:91], v[108:109], -v[110:111]
	v_add_f64_e64 v[88:89], v[112:113], -v[114:115]
	v_add_f64_e32 v[98:99], v[108:109], v[110:111]
	v_add_f64_e32 v[96:97], v[112:113], v[114:115]
	v_and_b32_e32 v112, 0xffff, v183
	s_delay_alu instid0(VALU_DEP_1)
	v_lshlrev_b32_e32 v112, 4, v112
	v_add_f64_e32 v[110:111], v[100:101], v[116:117]
	v_add_f64_e64 v[102:103], v[100:101], -v[116:117]
	v_add_f64_e32 v[108:109], v[118:119], v[120:121]
	v_add_f64_e64 v[100:101], v[118:119], -v[120:121]
	ds_store_b128 v112, v[84:87] offset:32
	ds_store_b128 v112, v[76:79] offset:48
	;; [unrolled: 1-line block ×4, first 2 shown]
	ds_store_b128 v112, v[96:99]
	ds_store_b128 v112, v[108:111] offset:16
	ds_store_b128 v112, v[100:103] offset:96
	;; [unrolled: 1-line block ×5, first 2 shown]
.LBB0_17:
	s_wait_alu 0xfffe
	s_or_b32 exec_lo, exec_lo, s1
	global_wb scope:SCOPE_SE
	s_wait_dscnt 0x0
	s_barrier_signal -1
	s_barrier_wait -1
	global_inv scope:SCOPE_SE
	ds_load_b128 v[72:75], v182 offset:960
	ds_load_b128 v[76:79], v182 offset:1920
	;; [unrolled: 1-line block ×6, first 2 shown]
	s_mov_b32 s2, 0x37e14327
	s_mov_b32 s3, 0x3fe948f6
	;; [unrolled: 1-line block ×10, first 2 shown]
	s_wait_dscnt 0x5
	v_mul_f64_e32 v[108:109], v[26:27], v[74:75]
	v_mul_f64_e32 v[26:27], v[26:27], v[72:73]
	s_wait_dscnt 0x4
	v_mul_f64_e32 v[110:111], v[22:23], v[78:79]
	v_mul_f64_e32 v[22:23], v[22:23], v[76:77]
	;; [unrolled: 3-line block ×6, first 2 shown]
	v_fma_f64 v[72:73], v[24:25], v[72:73], v[108:109]
	v_fma_f64 v[24:25], v[24:25], v[74:75], -v[26:27]
	v_fma_f64 v[26:27], v[20:21], v[76:77], v[110:111]
	v_fma_f64 v[20:21], v[20:21], v[78:79], -v[22:23]
	;; [unrolled: 2-line block ×6, first 2 shown]
	v_add_f64_e32 v[34:35], v[72:73], v[22:23]
	v_add_f64_e32 v[74:75], v[24:25], v[28:29]
	v_add_f64_e32 v[76:77], v[26:27], v[30:31]
	v_add_f64_e32 v[78:79], v[20:21], v[40:41]
	v_add_f64_e64 v[26:27], v[26:27], -v[30:31]
	v_add_f64_e64 v[30:31], v[20:21], -v[40:41]
	v_add_f64_e32 v[84:85], v[42:43], v[38:39]
	v_add_f64_e32 v[86:87], v[36:37], v[32:33]
	v_add_f64_e64 v[38:39], v[38:39], -v[42:43]
	v_add_f64_e64 v[32:33], v[32:33], -v[36:37]
	;; [unrolled: 1-line block ×4, first 2 shown]
	v_add_f64_e32 v[20:21], v[76:77], v[34:35]
	v_add_f64_e32 v[22:23], v[78:79], v[74:75]
	v_add_f64_e64 v[24:25], v[34:35], -v[84:85]
	v_add_f64_e64 v[40:41], v[74:75], -v[86:87]
	;; [unrolled: 1-line block ×10, first 2 shown]
	v_add_f64_e32 v[76:77], v[38:39], v[26:27]
	v_add_f64_e32 v[30:31], v[32:33], v[30:31]
	v_add_f64_e64 v[38:39], v[36:37], -v[38:39]
	v_add_f64_e64 v[32:33], v[28:29], -v[32:33]
	v_add_f64_e32 v[84:85], v[84:85], v[20:21]
	v_add_f64_e32 v[86:87], v[86:87], v[22:23]
	ds_load_b128 v[20:23], v182
	global_wb scope:SCOPE_SE
	s_wait_dscnt 0x0
	s_wait_alu 0xfffe
	v_mul_f64_e32 v[78:79], s[2:3], v[24:25]
	v_mul_f64_e32 v[40:41], s[2:3], v[40:41]
	s_mov_b32 s2, 0x429ad128
	v_mul_f64_e32 v[100:101], s[10:11], v[42:43]
	v_mul_f64_e32 v[102:103], s[10:11], v[72:73]
	;; [unrolled: 1-line block ×4, first 2 shown]
	s_mov_b32 s3, 0xbfebfeb5
	s_mov_b32 s14, 0xaaaaaaaa
	s_wait_alu 0xfffe
	v_mul_f64_e32 v[108:109], s[2:3], v[96:97]
	v_mul_f64_e32 v[110:111], s[2:3], v[98:99]
	s_mov_b32 s15, 0xbff2aaaa
	s_barrier_signal -1
	s_barrier_wait -1
	global_inv scope:SCOPE_SE
	v_add_f64_e32 v[24:25], v[20:21], v[84:85]
	v_add_f64_e32 v[26:27], v[22:23], v[86:87]
	;; [unrolled: 1-line block ×4, first 2 shown]
	v_fma_f64 v[28:29], v[42:43], s[10:11], v[78:79]
	v_fma_f64 v[30:31], v[72:73], s[10:11], v[40:41]
	v_fma_f64 v[36:37], v[34:35], s[16:17], -v[100:101]
	v_fma_f64 v[42:43], v[74:75], s[16:17], -v[102:103]
	s_mov_b32 s17, 0xbfe77f67
	v_fma_f64 v[72:73], v[38:39], s[18:19], v[88:89]
	v_fma_f64 v[76:77], v[32:33], s[18:19], v[90:91]
	s_mov_b32 s19, 0x3fd5d0dc
	v_fma_f64 v[88:89], v[96:97], s[2:3], -v[88:89]
	v_fma_f64 v[90:91], v[98:99], s[2:3], -v[90:91]
	s_wait_alu 0xfffe
	v_fma_f64 v[38:39], v[38:39], s[18:19], -v[108:109]
	v_fma_f64 v[32:33], v[32:33], s[18:19], -v[110:111]
	;; [unrolled: 1-line block ×4, first 2 shown]
	s_mov_b32 s2, 0x37c3f68c
	s_mov_b32 s3, 0xbfdc38aa
	v_fma_f64 v[84:85], v[84:85], s[14:15], v[24:25]
	v_fma_f64 v[86:87], v[86:87], s[14:15], v[26:27]
	s_wait_alu 0xfffe
	v_fma_f64 v[78:79], v[20:21], s[2:3], v[72:73]
	v_fma_f64 v[76:77], v[22:23], s[2:3], v[76:77]
	v_fma_f64 v[72:73], v[20:21], s[2:3], v[88:89]
	v_fma_f64 v[74:75], v[22:23], s[2:3], v[90:91]
	v_fma_f64 v[20:21], v[20:21], s[2:3], v[38:39]
	v_fma_f64 v[22:23], v[22:23], s[2:3], v[32:33]
	v_add_f64_e32 v[88:89], v[28:29], v[84:85]
	v_add_f64_e32 v[90:91], v[30:31], v[86:87]
	v_add_f64_e32 v[96:97], v[34:35], v[84:85]
	v_add_f64_e32 v[98:99], v[40:41], v[86:87]
	v_add_f64_e32 v[40:41], v[36:37], v[84:85]
	v_add_f64_e32 v[42:43], v[42:43], v[86:87]
	v_add_f64_e32 v[28:29], v[76:77], v[88:89]
	v_add_f64_e64 v[30:31], v[90:91], -v[78:79]
	v_add_f64_e32 v[32:33], v[22:23], v[96:97]
	v_add_f64_e64 v[34:35], v[98:99], -v[20:21]
	v_add_f64_e64 v[36:37], v[40:41], -v[74:75]
	v_add_f64_e32 v[38:39], v[72:73], v[42:43]
	v_add_f64_e32 v[40:41], v[74:75], v[40:41]
	v_add_f64_e64 v[42:43], v[42:43], -v[72:73]
	v_add_f64_e64 v[72:73], v[96:97], -v[22:23]
	v_add_f64_e32 v[74:75], v[20:21], v[98:99]
	v_add_f64_e64 v[20:21], v[88:89], -v[76:77]
	v_add_f64_e32 v[22:23], v[78:79], v[90:91]
	ds_store_b128 v184, v[24:27]
	ds_store_b128 v184, v[28:31] offset:160
	ds_store_b128 v184, v[32:35] offset:320
	ds_store_b128 v184, v[36:39] offset:480
	ds_store_b128 v184, v[40:43] offset:640
	ds_store_b128 v184, v[72:75] offset:800
	ds_store_b128 v184, v[20:23] offset:960
	global_wb scope:SCOPE_SE
	s_wait_dscnt 0x0
	s_barrier_signal -1
	s_barrier_wait -1
	global_inv scope:SCOPE_SE
	ds_load_b128 v[24:27], v182
	ds_load_b128 v[28:31], v182 offset:1120
	ds_load_b128 v[32:35], v182 offset:2240
	;; [unrolled: 1-line block ×5, first 2 shown]
	s_and_saveexec_b32 s1, s0
	s_cbranch_execz .LBB0_19
; %bb.18:
	ds_load_b128 v[20:23], v182 offset:960
	ds_load_b128 v[80:83], v182 offset:2080
	;; [unrolled: 1-line block ×6, first 2 shown]
.LBB0_19:
	s_wait_alu 0xfffe
	s_or_b32 exec_lo, exec_lo, s1
	s_wait_dscnt 0x2
	v_mul_f64_e32 v[76:77], v[46:47], v[40:41]
	s_wait_dscnt 0x0
	v_mul_f64_e32 v[78:79], v[50:51], v[72:73]
	v_mul_f64_e32 v[84:85], v[54:55], v[28:29]
	;; [unrolled: 1-line block ×5, first 2 shown]
	s_mov_b32 s2, 0xe8584caa
	s_mov_b32 s3, 0xbfebb67a
	s_mov_b32 s11, 0x3febb67a
	s_wait_alu 0xfffe
	s_mov_b32 s10, s2
	v_fma_f64 v[42:43], v[44:45], v[42:43], -v[76:77]
	v_fma_f64 v[74:75], v[48:49], v[74:75], -v[78:79]
	v_mul_f64_e32 v[76:77], v[62:63], v[34:35]
	v_mul_f64_e32 v[62:63], v[62:63], v[32:33]
	;; [unrolled: 1-line block ×4, first 2 shown]
	v_fma_f64 v[40:41], v[44:45], v[40:41], v[46:47]
	v_fma_f64 v[44:45], v[48:49], v[72:73], v[50:51]
	v_fma_f64 v[30:31], v[52:53], v[30:31], -v[84:85]
	v_fma_f64 v[28:29], v[52:53], v[28:29], v[54:55]
	v_add_f64_e32 v[46:47], v[42:43], v[74:75]
	v_fma_f64 v[32:33], v[60:61], v[32:33], v[76:77]
	v_fma_f64 v[34:35], v[60:61], v[34:35], -v[62:63]
	v_fma_f64 v[36:37], v[56:57], v[36:37], v[78:79]
	v_fma_f64 v[38:39], v[56:57], v[38:39], -v[58:59]
	v_add_f64_e64 v[56:57], v[42:43], -v[74:75]
	v_add_f64_e32 v[48:49], v[40:41], v[44:45]
	v_add_f64_e64 v[50:51], v[40:41], -v[44:45]
	v_fma_f64 v[46:47], v[46:47], -0.5, v[30:31]
	v_add_f64_e32 v[30:31], v[30:31], v[42:43]
	v_add_f64_e32 v[52:53], v[32:33], v[36:37]
	;; [unrolled: 1-line block ×3, first 2 shown]
	v_add_f64_e64 v[60:61], v[34:35], -v[38:39]
	v_fma_f64 v[48:49], v[48:49], -0.5, v[28:29]
	v_add_f64_e32 v[34:35], v[26:27], v[34:35]
	v_add_f64_e32 v[28:29], v[28:29], v[40:41]
	s_wait_alu 0xfffe
	v_fma_f64 v[58:59], v[50:51], s[10:11], v[46:47]
	v_fma_f64 v[46:47], v[50:51], s[2:3], v[46:47]
	v_add_f64_e32 v[50:51], v[24:25], v[32:33]
	v_add_f64_e64 v[32:33], v[32:33], -v[36:37]
	v_fma_f64 v[24:25], v[52:53], -0.5, v[24:25]
	v_fma_f64 v[26:27], v[54:55], -0.5, v[26:27]
	v_fma_f64 v[40:41], v[56:57], s[2:3], v[48:49]
	v_fma_f64 v[42:43], v[56:57], s[10:11], v[48:49]
	v_add_f64_e32 v[34:35], v[34:35], v[38:39]
	v_add_f64_e32 v[28:29], v[28:29], v[44:45]
	v_add_f64_e32 v[30:31], v[30:31], v[74:75]
	v_mul_f64_e32 v[48:49], s[2:3], v[58:59]
	v_mul_f64_e32 v[54:55], 0.5, v[58:59]
	v_mul_f64_e32 v[52:53], s[2:3], v[46:47]
	v_mul_f64_e32 v[46:47], -0.5, v[46:47]
	v_add_f64_e32 v[36:37], v[50:51], v[36:37]
	v_fma_f64 v[44:45], v[60:61], s[2:3], v[24:25]
	v_fma_f64 v[56:57], v[32:33], s[10:11], v[26:27]
	;; [unrolled: 1-line block ×4, first 2 shown]
	v_add_f64_e32 v[26:27], v[34:35], v[30:31]
	v_add_f64_e64 v[30:31], v[34:35], -v[30:31]
	v_fma_f64 v[48:49], v[40:41], 0.5, v[48:49]
	v_fma_f64 v[54:55], v[40:41], s[10:11], v[54:55]
	v_fma_f64 v[52:53], v[42:43], -0.5, v[52:53]
	v_fma_f64 v[46:47], v[42:43], s[10:11], v[46:47]
	v_add_f64_e32 v[24:25], v[36:37], v[28:29]
	v_add_f64_e64 v[28:29], v[36:37], -v[28:29]
	v_add_f64_e32 v[32:33], v[44:45], v[48:49]
	v_add_f64_e32 v[34:35], v[56:57], v[54:55]
	;; [unrolled: 1-line block ×4, first 2 shown]
	v_add_f64_e64 v[40:41], v[44:45], -v[48:49]
	v_add_f64_e64 v[42:43], v[56:57], -v[54:55]
	;; [unrolled: 1-line block ×4, first 2 shown]
	ds_store_b128 v182, v[24:27]
	ds_store_b128 v182, v[32:35] offset:1120
	ds_store_b128 v182, v[36:39] offset:2240
	;; [unrolled: 1-line block ×5, first 2 shown]
	s_and_saveexec_b32 s1, s0
	s_cbranch_execz .LBB0_21
; %bb.20:
	v_mul_f64_e32 v[24:25], v[2:3], v[104:105]
	v_mul_f64_e32 v[26:27], v[18:19], v[68:69]
	;; [unrolled: 1-line block ×10, first 2 shown]
	v_fma_f64 v[24:25], v[0:1], v[106:107], -v[24:25]
	v_fma_f64 v[26:27], v[16:17], v[70:71], -v[26:27]
	v_fma_f64 v[0:1], v[0:1], v[104:105], v[2:3]
	v_fma_f64 v[2:3], v[16:17], v[68:69], v[18:19]
	v_fma_f64 v[16:17], v[4:5], v[82:83], -v[28:29]
	v_fma_f64 v[28:29], v[12:13], v[94:95], -v[30:31]
	;; [unrolled: 1-line block ×3, first 2 shown]
	v_fma_f64 v[12:13], v[12:13], v[92:93], v[14:15]
	v_fma_f64 v[8:9], v[8:9], v[64:65], v[10:11]
	;; [unrolled: 1-line block ×3, first 2 shown]
	v_add_f64_e32 v[18:19], v[24:25], v[26:27]
	v_add_f64_e64 v[32:33], v[24:25], -v[26:27]
	v_add_f64_e32 v[6:7], v[0:1], v[2:3]
	v_add_f64_e64 v[10:11], v[0:1], -v[2:3]
	v_add_f64_e32 v[38:39], v[22:23], v[28:29]
	v_add_f64_e32 v[34:35], v[12:13], v[8:9]
	;; [unrolled: 1-line block ×3, first 2 shown]
	v_fma_f64 v[14:15], v[18:19], -0.5, v[16:17]
	v_add_f64_e32 v[18:19], v[28:29], v[30:31]
	v_fma_f64 v[6:7], v[6:7], -0.5, v[4:5]
	v_add_f64_e32 v[16:17], v[16:17], v[24:25]
	v_add_f64_e64 v[24:25], v[28:29], -v[30:31]
	v_add_f64_e32 v[30:31], v[38:39], v[30:31]
	v_fma_f64 v[36:37], v[10:11], s[2:3], v[14:15]
	v_fma_f64 v[10:11], v[10:11], s[10:11], v[14:15]
	v_add_f64_e64 v[14:15], v[12:13], -v[8:9]
	v_add_f64_e32 v[12:13], v[20:21], v[12:13]
	v_fma_f64 v[4:5], v[18:19], -0.5, v[22:23]
	v_fma_f64 v[18:19], v[34:35], -0.5, v[20:21]
	v_fma_f64 v[20:21], v[32:33], s[10:11], v[6:7]
	v_fma_f64 v[6:7], v[32:33], s[2:3], v[6:7]
	v_add_f64_e32 v[16:17], v[16:17], v[26:27]
	v_mul_f64_e32 v[22:23], -0.5, v[36:37]
	v_mul_f64_e32 v[28:29], 0.5, v[10:11]
	v_mul_f64_e32 v[10:11], s[2:3], v[10:11]
	v_mul_f64_e32 v[32:33], s[2:3], v[36:37]
	v_add_f64_e32 v[8:9], v[12:13], v[8:9]
	v_add_f64_e32 v[12:13], v[0:1], v[2:3]
	v_fma_f64 v[26:27], v[14:15], s[2:3], v[4:5]
	v_fma_f64 v[34:35], v[14:15], s[10:11], v[4:5]
	v_fma_f64 v[36:37], v[24:25], s[10:11], v[18:19]
	v_fma_f64 v[24:25], v[24:25], s[2:3], v[18:19]
	v_add_f64_e64 v[2:3], v[30:31], -v[16:17]
	v_fma_f64 v[14:15], v[20:21], s[10:11], v[22:23]
	v_fma_f64 v[22:23], v[6:7], s[10:11], v[28:29]
	v_fma_f64 v[28:29], v[6:7], 0.5, v[10:11]
	v_fma_f64 v[32:33], v[20:21], -0.5, v[32:33]
	v_add_f64_e32 v[6:7], v[30:31], v[16:17]
	v_add_f64_e32 v[4:5], v[8:9], v[12:13]
	v_add_f64_e64 v[0:1], v[8:9], -v[12:13]
	v_add_f64_e64 v[10:11], v[26:27], -v[14:15]
	v_add_f64_e32 v[18:19], v[34:35], v[22:23]
	v_add_f64_e32 v[16:17], v[24:25], v[28:29]
	;; [unrolled: 1-line block ×4, first 2 shown]
	v_add_f64_e64 v[22:23], v[34:35], -v[22:23]
	v_add_f64_e64 v[20:21], v[24:25], -v[28:29]
	v_add_f64_e64 v[8:9], v[36:37], -v[32:33]
	ds_store_b128 v182, v[4:7] offset:960
	ds_store_b128 v182, v[16:19] offset:2080
	ds_store_b128 v182, v[12:15] offset:3200
	ds_store_b128 v182, v[0:3] offset:4320
	ds_store_b128 v182, v[20:23] offset:5440
	ds_store_b128 v182, v[8:11] offset:6560
.LBB0_21:
	s_wait_alu 0xfffe
	s_or_b32 exec_lo, exec_lo, s1
	global_wb scope:SCOPE_SE
	s_wait_dscnt 0x0
	s_barrier_signal -1
	s_barrier_wait -1
	global_inv scope:SCOPE_SE
	s_and_b32 exec_lo, exec_lo, vcc_lo
	s_cbranch_execz .LBB0_23
; %bb.22:
	s_clause 0x9
	global_load_b128 v[0:3], v182, s[12:13]
	global_load_b128 v[4:7], v182, s[12:13] offset:672
	global_load_b128 v[8:11], v182, s[12:13] offset:1344
	;; [unrolled: 1-line block ×9, first 2 shown]
	ds_load_b128 v[40:43], v182
	ds_load_b128 v[44:47], v182 offset:672
	ds_load_b128 v[48:51], v182 offset:1344
	;; [unrolled: 1-line block ×9, first 2 shown]
	v_mad_co_u64_u32 v[80:81], null, s6, v124, 0
	v_mad_co_u64_u32 v[82:83], null, s4, v181, 0
	s_mul_u64 s[0:1], s[4:5], 0x2a0
	s_mov_b32 s2, 0x13813814
	s_mov_b32 s3, 0x3f638138
	s_delay_alu instid0(VALU_DEP_1) | instskip(NEXT) | instid1(VALU_DEP_1)
	v_mad_co_u64_u32 v[84:85], null, s7, v124, v[81:82]
	v_mad_co_u64_u32 v[105:106], null, s5, v181, v[83:84]
	v_mov_b32_e32 v81, v84
	s_delay_alu instid0(VALU_DEP_1) | instskip(NEXT) | instid1(VALU_DEP_3)
	v_lshlrev_b64_e32 v[80:81], 4, v[80:81]
	v_mov_b32_e32 v83, v105
	s_delay_alu instid0(VALU_DEP_1) | instskip(NEXT) | instid1(VALU_DEP_3)
	v_lshlrev_b64_e32 v[82:83], 4, v[82:83]
	v_add_co_u32 v80, vcc_lo, s8, v80
	s_delay_alu instid0(VALU_DEP_4)
	v_add_co_ci_u32_e32 v81, vcc_lo, s9, v81, vcc_lo
	s_wait_loadcnt_dscnt 0x909
	v_mul_f64_e32 v[85:86], v[42:43], v[2:3]
	v_mul_f64_e32 v[2:3], v[40:41], v[2:3]
	s_wait_loadcnt_dscnt 0x808
	v_mul_f64_e32 v[87:88], v[46:47], v[6:7]
	v_mul_f64_e32 v[6:7], v[44:45], v[6:7]
	;; [unrolled: 3-line block ×10, first 2 shown]
	v_fma_f64 v[40:41], v[40:41], v[0:1], v[85:86]
	v_fma_f64 v[2:3], v[0:1], v[42:43], -v[2:3]
	v_fma_f64 v[42:43], v[44:45], v[4:5], v[87:88]
	v_fma_f64 v[6:7], v[4:5], v[46:47], -v[6:7]
	;; [unrolled: 2-line block ×10, first 2 shown]
	v_add_co_u32 v60, vcc_lo, v80, v82
	s_wait_alu 0xfffd
	v_add_co_ci_u32_e32 v61, vcc_lo, v81, v83, vcc_lo
	s_wait_alu 0xfffe
	s_delay_alu instid0(VALU_DEP_2) | instskip(SKIP_1) | instid1(VALU_DEP_2)
	v_add_co_u32 v62, vcc_lo, v60, s0
	s_wait_alu 0xfffd
	v_add_co_ci_u32_e32 v63, vcc_lo, s1, v61, vcc_lo
	s_delay_alu instid0(VALU_DEP_2) | instskip(SKIP_1) | instid1(VALU_DEP_2)
	v_add_co_u32 v64, vcc_lo, v62, s0
	s_wait_alu 0xfffd
	v_add_co_ci_u32_e32 v65, vcc_lo, s1, v63, vcc_lo
	;; [unrolled: 4-line block ×3, first 2 shown]
	v_mul_f64_e32 v[0:1], s[2:3], v[40:41]
	v_mul_f64_e32 v[2:3], s[2:3], v[2:3]
	;; [unrolled: 1-line block ×20, first 2 shown]
	v_add_co_u32 v40, vcc_lo, v66, s0
	s_wait_alu 0xfffd
	v_add_co_ci_u32_e32 v41, vcc_lo, s1, v67, vcc_lo
	s_delay_alu instid0(VALU_DEP_2) | instskip(SKIP_1) | instid1(VALU_DEP_2)
	v_add_co_u32 v42, vcc_lo, v40, s0
	s_wait_alu 0xfffd
	v_add_co_ci_u32_e32 v43, vcc_lo, s1, v41, vcc_lo
	s_delay_alu instid0(VALU_DEP_2) | instskip(SKIP_1) | instid1(VALU_DEP_2)
	;; [unrolled: 4-line block ×5, first 2 shown]
	v_add_co_u32 v50, vcc_lo, v48, s0
	s_wait_alu 0xfffd
	v_add_co_ci_u32_e32 v51, vcc_lo, s1, v49, vcc_lo
	s_clause 0x4
	global_store_b128 v[60:61], v[0:3], off
	global_store_b128 v[62:63], v[4:7], off
	;; [unrolled: 1-line block ×10, first 2 shown]
.LBB0_23:
	s_nop 0
	s_sendmsg sendmsg(MSG_DEALLOC_VGPRS)
	s_endpgm
	.section	.rodata,"a",@progbits
	.p2align	6, 0x0
	.amdhsa_kernel bluestein_single_fwd_len420_dim1_dp_op_CI_CI
		.amdhsa_group_segment_fixed_size 6720
		.amdhsa_private_segment_fixed_size 0
		.amdhsa_kernarg_size 104
		.amdhsa_user_sgpr_count 2
		.amdhsa_user_sgpr_dispatch_ptr 0
		.amdhsa_user_sgpr_queue_ptr 0
		.amdhsa_user_sgpr_kernarg_segment_ptr 1
		.amdhsa_user_sgpr_dispatch_id 0
		.amdhsa_user_sgpr_private_segment_size 0
		.amdhsa_wavefront_size32 1
		.amdhsa_uses_dynamic_stack 0
		.amdhsa_enable_private_segment 0
		.amdhsa_system_sgpr_workgroup_id_x 1
		.amdhsa_system_sgpr_workgroup_id_y 0
		.amdhsa_system_sgpr_workgroup_id_z 0
		.amdhsa_system_sgpr_workgroup_info 0
		.amdhsa_system_vgpr_workitem_id 0
		.amdhsa_next_free_vgpr 219
		.amdhsa_next_free_sgpr 24
		.amdhsa_reserve_vcc 1
		.amdhsa_float_round_mode_32 0
		.amdhsa_float_round_mode_16_64 0
		.amdhsa_float_denorm_mode_32 3
		.amdhsa_float_denorm_mode_16_64 3
		.amdhsa_fp16_overflow 0
		.amdhsa_workgroup_processor_mode 1
		.amdhsa_memory_ordered 1
		.amdhsa_forward_progress 0
		.amdhsa_round_robin_scheduling 0
		.amdhsa_exception_fp_ieee_invalid_op 0
		.amdhsa_exception_fp_denorm_src 0
		.amdhsa_exception_fp_ieee_div_zero 0
		.amdhsa_exception_fp_ieee_overflow 0
		.amdhsa_exception_fp_ieee_underflow 0
		.amdhsa_exception_fp_ieee_inexact 0
		.amdhsa_exception_int_div_zero 0
	.end_amdhsa_kernel
	.text
.Lfunc_end0:
	.size	bluestein_single_fwd_len420_dim1_dp_op_CI_CI, .Lfunc_end0-bluestein_single_fwd_len420_dim1_dp_op_CI_CI
                                        ; -- End function
	.section	.AMDGPU.csdata,"",@progbits
; Kernel info:
; codeLenInByte = 10260
; NumSgprs: 26
; NumVgprs: 219
; ScratchSize: 0
; MemoryBound: 0
; FloatMode: 240
; IeeeMode: 1
; LDSByteSize: 6720 bytes/workgroup (compile time only)
; SGPRBlocks: 3
; VGPRBlocks: 27
; NumSGPRsForWavesPerEU: 26
; NumVGPRsForWavesPerEU: 219
; Occupancy: 6
; WaveLimiterHint : 1
; COMPUTE_PGM_RSRC2:SCRATCH_EN: 0
; COMPUTE_PGM_RSRC2:USER_SGPR: 2
; COMPUTE_PGM_RSRC2:TRAP_HANDLER: 0
; COMPUTE_PGM_RSRC2:TGID_X_EN: 1
; COMPUTE_PGM_RSRC2:TGID_Y_EN: 0
; COMPUTE_PGM_RSRC2:TGID_Z_EN: 0
; COMPUTE_PGM_RSRC2:TIDIG_COMP_CNT: 0
	.text
	.p2alignl 7, 3214868480
	.fill 96, 4, 3214868480
	.type	__hip_cuid_d5df6dee3a8543e0,@object ; @__hip_cuid_d5df6dee3a8543e0
	.section	.bss,"aw",@nobits
	.globl	__hip_cuid_d5df6dee3a8543e0
__hip_cuid_d5df6dee3a8543e0:
	.byte	0                               ; 0x0
	.size	__hip_cuid_d5df6dee3a8543e0, 1

	.ident	"AMD clang version 19.0.0git (https://github.com/RadeonOpenCompute/llvm-project roc-6.4.0 25133 c7fe45cf4b819c5991fe208aaa96edf142730f1d)"
	.section	".note.GNU-stack","",@progbits
	.addrsig
	.addrsig_sym __hip_cuid_d5df6dee3a8543e0
	.amdgpu_metadata
---
amdhsa.kernels:
  - .args:
      - .actual_access:  read_only
        .address_space:  global
        .offset:         0
        .size:           8
        .value_kind:     global_buffer
      - .actual_access:  read_only
        .address_space:  global
        .offset:         8
        .size:           8
        .value_kind:     global_buffer
      - .actual_access:  read_only
        .address_space:  global
        .offset:         16
        .size:           8
        .value_kind:     global_buffer
      - .actual_access:  read_only
        .address_space:  global
        .offset:         24
        .size:           8
        .value_kind:     global_buffer
      - .actual_access:  read_only
        .address_space:  global
        .offset:         32
        .size:           8
        .value_kind:     global_buffer
      - .offset:         40
        .size:           8
        .value_kind:     by_value
      - .address_space:  global
        .offset:         48
        .size:           8
        .value_kind:     global_buffer
      - .address_space:  global
        .offset:         56
        .size:           8
        .value_kind:     global_buffer
      - .address_space:  global
        .offset:         64
        .size:           8
        .value_kind:     global_buffer
      - .address_space:  global
        .offset:         72
        .size:           8
        .value_kind:     global_buffer
      - .offset:         80
        .size:           4
        .value_kind:     by_value
      - .address_space:  global
        .offset:         88
        .size:           8
        .value_kind:     global_buffer
      - .address_space:  global
        .offset:         96
        .size:           8
        .value_kind:     global_buffer
    .group_segment_fixed_size: 6720
    .kernarg_segment_align: 8
    .kernarg_segment_size: 104
    .language:       OpenCL C
    .language_version:
      - 2
      - 0
    .max_flat_workgroup_size: 60
    .name:           bluestein_single_fwd_len420_dim1_dp_op_CI_CI
    .private_segment_fixed_size: 0
    .sgpr_count:     26
    .sgpr_spill_count: 0
    .symbol:         bluestein_single_fwd_len420_dim1_dp_op_CI_CI.kd
    .uniform_work_group_size: 1
    .uses_dynamic_stack: false
    .vgpr_count:     219
    .vgpr_spill_count: 0
    .wavefront_size: 32
    .workgroup_processor_mode: 1
amdhsa.target:   amdgcn-amd-amdhsa--gfx1201
amdhsa.version:
  - 1
  - 2
...

	.end_amdgpu_metadata
